;; amdgpu-corpus repo=ROCm/hipBLASLt kind=harvested arch=n/a opt=n/a

/******************************************/
/* Begin Kernel                           */
/******************************************/
.amdgcn_target "amdgcn-amd-amdhsa--gfx942"
.text
.protected Custom_Cijk_Alik_Bljk_BBS_BH_MT128x16x128_MI16x16x1_SN_GSUM_K1_MIWT2_1_01
.globl Custom_Cijk_Alik_Bljk_BBS_BH_MT128x16x128_MI16x16x1_SN_GSUM_K1_MIWT2_1_01
.p2align 8
.type Custom_Cijk_Alik_Bljk_BBS_BH_MT128x16x128_MI16x16x1_SN_GSUM_K1_MIWT2_1_01,@function
.section .rodata,#alloc
.p2align 6
.amdhsa_kernel Custom_Cijk_Alik_Bljk_BBS_BH_MT128x16x128_MI16x16x1_SN_GSUM_K1_MIWT2_1_01
  .amdhsa_user_sgpr_kernarg_segment_ptr 1
  .amdhsa_accum_offset 256 // accvgpr offset
  .amdhsa_next_free_vgpr 264 // vgprs
  .amdhsa_next_free_sgpr 82 // sgprs
  .amdhsa_group_segment_fixed_size 39424 // lds bytes
  .amdhsa_private_segment_fixed_size 0
  .amdhsa_system_sgpr_workgroup_id_x 1
  .amdhsa_system_sgpr_workgroup_id_y 1
  .amdhsa_system_sgpr_workgroup_id_z 1
  .amdhsa_system_vgpr_workitem_id 0
  .amdhsa_float_denorm_mode_32 3
  .amdhsa_float_denorm_mode_16_64 3
.end_amdhsa_kernel
.text
/* Num VGPR   =256 */
/* Num AccVGPR=8 */
/* Num SGPR   =82 */

/******************************************/
/* Optimizations and Config:              */
/******************************************/
/* ThreadTile= 8 x 1 */
/* SubGroup= 16 x 16 */
/* VectorWidthA=2 */
/* VectorWidthB=1 */
/* GlobalReadVectorWidthA=8, GlobalReadVectorWidthB=8 */
/* DirectToLdsA=False */
/* DirectToLdsB=False */
/* UseSgprForGRO=1 */
.amdgpu_metadata
---
custom.config:
   InternalSupportParams:
      KernArgsVersion: 0
      SupportUserGSU: True
      SupportCustomWGM: True
      SupportCustomStaggerU: False
      UseUniversalArgs: False
amdhsa.version:
  - 1
  - 1
amdhsa.kernels:
  - .name: Custom_Cijk_Alik_Bljk_BBS_BH_MT128x16x128_MI16x16x1_SN_GSUM_K1_MIWT2_1_01
    .symbol: 'Custom_Cijk_Alik_Bljk_BBS_BH_MT128x16x128_MI16x16x1_SN_GSUM_K1_MIWT2_1_01.kd'
    .language:                   OpenCL C
    .language_version:
      - 2
      - 0
    .args:
      - .name:            SizesFree0
        .size:            4
        .offset:          0
        .value_kind:      by_value
        .value_type:      u32
      - .name:            SizesFree1
        .size:            4
        .offset:          4
        .value_kind:      by_value
        .value_type:      u32
      - .name:            SizesFree2
        .size:            4
        .offset:          8
        .value_kind:      by_value
        .value_type:      u32
      - .name:            SizesSum0
        .size:            4
        .offset:          12
        .value_kind:      by_value
        .value_type:      u32
      - .name:            D
        .size:            8
        .offset:          16
        .value_kind:      global_buffer
        .value_type:      bf16
        .address_space:   generic
      - .name:            C
        .size:            8
        .offset:          24
        .value_kind:      global_buffer
        .value_type:      bf16
        .address_space:   generic
      - .name:            A
        .size:            8
        .offset:          32
        .value_kind:      global_buffer
        .value_type:      bf16
        .address_space:   generic
      - .name:            B
        .size:            8
        .offset:          40
        .value_kind:      global_buffer
        .value_type:      bf16
        .address_space:   generic
      - .name:            strideD0
        .size:            4
        .offset:          48
        .value_kind:      by_value
        .value_type:      u32
      - .name:            strideD1
        .size:            4
        .offset:          52
        .value_kind:      by_value
        .value_type:      u32
      - .name:            strideC0
        .size:            4
        .offset:          56
        .value_kind:      by_value
        .value_type:      u32
      - .name:            strideC1
        .size:            4
        .offset:          60
        .value_kind:      by_value
        .value_type:      u32
      - .name:            strideA0
        .size:            4
        .offset:          64
        .value_kind:      by_value
        .value_type:      u32
      - .name:            strideA1
        .size:            4
        .offset:          68
        .value_kind:      by_value
        .value_type:      u32
      - .name:            strideB0
        .size:            4
        .offset:          72
        .value_kind:      by_value
        .value_type:      u32
      - .name:            strideB1
        .size:            4
        .offset:          76
        .value_kind:      by_value
        .value_type:      u32
      - .name:            alpha
        .size:            4
        .offset:          80
        .value_kind:      by_value
        .value_type:      f32
      - .name:            beta
        .size:            4
        .offset:          84
        .value_kind:      by_value
        .value_type:      f32
      - .name:            internalArgs
        .size:            4
        .offset:          88
        .value_kind:      by_value
        .value_type:      u32
      - .name:            dstD
        .size:            8
        .offset:          92
        .value_kind:      global_buffer
        .value_type:      bf16
        .address_space:   generic
      - .name:            Synchronizer
        .size:            8
        .offset:          100
        .value_kind:      global_buffer
        .value_type:      f32
        .address_space:   generic
      - .name:            GSUSync
        .size:            4
        .offset:          108
        .value_kind:      by_value
        .value_type:      u32
    .group_segment_fixed_size:   39424
    .kernarg_segment_align:      8
    .kernarg_segment_size:       112
    .max_flat_workgroup_size:    256
    .private_segment_fixed_size: 0
    .sgpr_count:                 82
    .sgpr_spill_count:           0
    .vgpr_count:                 256
    .vgpr_spill_count:           0
    .wavefront_size:             64
...
.end_amdgpu_metadata
Custom_Cijk_Alik_Bljk_BBS_BH_MT128x16x128_MI16x16x1_SN_GSUM_K1_MIWT2_1_01:
.long 0xC0120700, 0x00000000
.long 0xC00A0B00, 0x00000040
	;; [unrolled: 1-line block ×5, first 2 shown]
.long 0x7EB40300
.long 0x2602B4BF
	;; [unrolled: 1-line block ×29, first 2 shown]
.long 0xBEB300FF, 0x00000080
.long 0xD2850002, 0x00020433
	;; [unrolled: 1-line block ×3, first 2 shown]
.long 0x2006B089
.long 0x24060685
	;; [unrolled: 1-line block ×5, first 2 shown]
.long 0xD2850000, 0x00020033
.long 0xD1FE0059, 0x02060300
.long 0x2004B288
.long 0x24040485
	;; [unrolled: 1-line block ×3, first 2 shown]
.long 0x32B2B2FF, 0x00008800
.long 0x2608B4BF
.long 0x20000884
	;; [unrolled: 1-line block ×5, first 2 shown]
.long 0xD2850000, 0x00020105
.long 0x68000104
.long 0x24020283
	;; [unrolled: 1-line block ×12, first 2 shown]
.long 0x106000FF, 0x00000080
.long 0xD1FE0030, 0x02066104
.long 0x200C6089
.long 0x240C0C85
	;; [unrolled: 1-line block ×3, first 2 shown]
.long 0x106204FF, 0x00000080
.long 0xD1FE0031, 0x02066305
.long 0x200C6288
.long 0x240C0C85
	;; [unrolled: 1-line block ×3, first 2 shown]
.long 0x326262FF, 0x00008800
.long 0xBF8CC07F
.long 0x8609FF32, 0x0000FF00
.long 0x8F098809
.long 0x8632FF32, 0x000000FF
.long 0x7E1002FF, 0x00000080
.long 0x7E0E021C
.long 0x7E0C0D08
	;; [unrolled: 1-line block ×8, first 2 shown]
.long 0xD0CD006A, 0x00010109
.long 0xD11C6A06, 0x01A90106
.long 0x7E100290
.long 0x7E0E021D
	;; [unrolled: 1-line block ×10, first 2 shown]
.long 0xD0CD006A, 0x00010109
.long 0xD11C6A06, 0x01A90106
.long 0xBF800000
.long 0x7E2A0506
	;; [unrolled: 1-line block ×6, first 2 shown]
.long 0xD042006A, 0x00010030
.long 0xBF860001
.long 0xBE9F0080
	;; [unrolled: 1-line block ×9, first 2 shown]
.long 0xD1080007, 0x00006506
.long 0x6A0E0E03
.long 0xD0DA007E, 0x00006507
.long 0x680C0C81
.long 0x7E0E0280
	;; [unrolled: 1-line block ×18, first 2 shown]
.long 0xD1080007, 0x00001306
.long 0x6A0E0E03
.long 0xD0DA007E, 0x00001307
.long 0x680C0C81
.long 0xBEFE01C1
	;; [unrolled: 1-line block ×12, first 2 shown]
.long 0xD1080007, 0x00001306
.long 0x6A0E0E15
.long 0xD0DA007E, 0x00001307
.long 0x680C0C81
.long 0xBEFE01C1
	;; [unrolled: 1-line block ×14, first 2 shown]
.long 0xD1080007, 0x00009D06
.long 0x6A0E0E51
.long 0xD0DA007E, 0x00009D07
.long 0x680C0C81
.long 0x7E0E0280
	;; [unrolled: 1-line block ×7, first 2 shown]
.long 0xD2850006, 0x0002002C
.long 0x32640D01
.long 0x68646488
	;; [unrolled: 1-line block ×17, first 2 shown]
.long 0xD2850006, 0x0002042E
.long 0x32660D03
.long 0x68666688
	;; [unrolled: 1-line block ×3, first 2 shown]
.long 0x9651FF02, 0x00000080
.long 0x9250FF02, 0x00000080
.long 0x96512C50
.long 0x92502C50
.long 0x964F06FF, 0x00000080
.long 0x924E06FF, 0x00000080
.long 0x80504E50
.long 0x82514F51
	;; [unrolled: 1-line block ×28, first 2 shown]
.long 0xBEB700FF, 0x00020000
.long 0x96519003
.long 0x92509003
	;; [unrolled: 1-line block ×4, first 2 shown]
.long 0x964F06FF, 0x00000080
.long 0x924E06FF, 0x00000080
.long 0x80504E50
.long 0x82514F51
	;; [unrolled: 1-line block ×28, first 2 shown]
.long 0xBEBB00FF, 0x00020000
.long 0x924DFF32, 0x00000100
.long 0xBEC4004D
.long 0x924DFF32, 0x00000100
.long 0xBEC5004D
.long 0x8F0A871F
	;; [unrolled: 1-line block ×9, first 2 shown]
.long 0xD1080001, 0x00006500
.long 0x6A02020A
.long 0xD0DA007E, 0x00006501
.long 0x68000081
.long 0x7E020280
	;; [unrolled: 1-line block ×47, first 2 shown]
.long 0xE05C1000, 0x800D3432
.long 0xE05C1000, 0x460D3832
	;; [unrolled: 1-line block ×9, first 2 shown]
.long 0x8050810A
.long 0xBF065033
	;; [unrolled: 1-line block ×22, first 2 shown]
.long 0xBE8E00FF, 0x80000000
.long 0xBE8F00FF, 0x00020000
.long 0xBE900022
.long 0xBE910023
.long 0xBE9200FF, 0x80000000
.long 0xBE9300FF, 0x00020000
.long 0x92500390
.long 0x964F2A50
	;; [unrolled: 1-line block ×42, first 2 shown]
.long 0xD3D94000, 0x18000080
.long 0xD3D94001, 0x18000080
	;; [unrolled: 1-line block ×8, first 2 shown]
.long 0xBF06800A
.long 0xBF840006
	;; [unrolled: 1-line block ×3, first 2 shown]
.long 0x815084FF, 0x00002940
.long 0x804E504E
.long 0x824F804F
	;; [unrolled: 1-line block ×4, first 2 shown]
.long 0xD9BE0000, 0x00003430
.long 0xD9BE0440, 0x00003830
	;; [unrolled: 1-line block ×9, first 2 shown]
.long 0xBF06810A
.long 0xBF850012
.long 0xE05C1000, 0x800D3432
.long 0xE05C1000, 0x460D3832
	;; [unrolled: 1-line block ×9, first 2 shown]
.long 0xBF8CC07F
.long 0xBF8A0000
.long 0xD9FE0000, 0x00000058
.long 0xD9FE0100, 0x04000058
	;; [unrolled: 1-line block ×3, first 2 shown]
.long 0xBF06810A
.long 0xBF8500F9
	;; [unrolled: 1-line block ×5, first 2 shown]
.long 0xD3E18000, 0x04024100
.long 0xD9FE0040, 0x08000058
	;; [unrolled: 1-line block ×4, first 2 shown]
.long 0xBF06330A
.long 0x854E4440
.long 0x854F8041
.long 0x80344E34
.long 0x82354F35
.long 0x80BC4E3C
.long 0x82BD4F3D
.long 0xD3E18004, 0x04124104
.long 0xD9FE0080, 0x10000058
.long 0xD9FE0080, 0x28000059
.long 0xBF06803D
.long 0xBF8CC57F
.long 0xD3E18000, 0x04024502
.long 0xD9FE0180, 0x14000058
.long 0x8536C13C
.long 0xD3E18004, 0x04124506
.long 0xD9FE00C0, 0x18000058
	;; [unrolled: 1-line block ×3, first 2 shown]
.long 0xBF06330A
.long 0xBF8CC57F
.long 0xD3E18000, 0x04024908
.long 0xD9FE01C0, 0x1C000058
.long 0x854E4542
.long 0xD3E18004, 0x0412490C
.long 0x854F8043
.long 0xBF8CC67F
.long 0xD3E18000, 0x04024D0A
.long 0x80384E38
.long 0xD3E18004, 0x04124D0E
.long 0x82394F39
.long 0xBF8CC37F
	;; [unrolled: 5-line block ×3, first 2 shown]
.long 0xD3E18000, 0x04025512
.long 0xBF06803F
.long 0xBF8CC07F
	;; [unrolled: 1-line block ×3, first 2 shown]
.long 0xD3E18004, 0x04125516
.long 0x853AC13E
.long 0xBF8C0F78
.long 0xD9BE0000, 0x00003430
.long 0xE05C1000, 0x800D3432
.long 0xBF8C0F78
.long 0xD9BE0440, 0x00003830
.long 0xE05C1000, 0x460D3832
	;; [unrolled: 3-line block ×10, first 2 shown]
.long 0xBF8CC07F
.long 0xBF8A0000
	;; [unrolled: 1-line block ×3, first 2 shown]
.long 0xD3E18000, 0x04025D1A
.long 0xD9FE0000, 0x00000058
	;; [unrolled: 1-line block ×5, first 2 shown]
.long 0x808A810A
.long 0xBF00820A
	;; [unrolled: 1-line block ×4, first 2 shown]
.long 0xD3E18000, 0x04024100
.long 0xD9FE0040, 0x08000058
	;; [unrolled: 1-line block ×4, first 2 shown]
.long 0xBF06330A
.long 0x854E4440
	;; [unrolled: 1-line block ×7, first 2 shown]
.long 0xD3E18004, 0x04124104
.long 0xD9FE0080, 0x10000058
	;; [unrolled: 1-line block ×3, first 2 shown]
.long 0xBF06803D
.long 0xBF8CC57F
.long 0xD3E18000, 0x04024502
.long 0xD9FE0180, 0x14000058
.long 0x8536C13C
.long 0xD3E18004, 0x04124506
.long 0xD9FE00C0, 0x18000058
	;; [unrolled: 1-line block ×3, first 2 shown]
.long 0xBF06330A
.long 0xBF8CC57F
.long 0xD3E18000, 0x04024908
.long 0xD9FE01C0, 0x1C000058
.long 0x854E4542
.long 0xD3E18004, 0x0412490C
.long 0x854F8043
.long 0xBF8CC67F
.long 0xD3E18000, 0x04024D0A
.long 0x80384E38
.long 0xD3E18004, 0x04124D0E
.long 0x82394F39
.long 0xBF8CC37F
	;; [unrolled: 5-line block ×3, first 2 shown]
.long 0xD3E18000, 0x04025512
.long 0xBF06803F
.long 0xBF8CC07F
	;; [unrolled: 1-line block ×3, first 2 shown]
.long 0xD3E18004, 0x04125516
.long 0x853AC13E
.long 0xBF8C0F78
.long 0xD9BE0000, 0x00003430
.long 0xBF8C0F77
.long 0xD9BE0440, 0x00003830
	;; [unrolled: 2-line block ×10, first 2 shown]
.long 0xD3E18004, 0x0412591C
.long 0xBF8CC07F
.long 0xBF8A0000
	;; [unrolled: 1-line block ×3, first 2 shown]
.long 0xD3E18000, 0x04025D1A
.long 0xD9FE0000, 0x00000058
	;; [unrolled: 1-line block ×5, first 2 shown]
.long 0xBF068132
.long 0xBF8408E4
.long 0xB4310000
.long 0xBF8408E2
.long 0xBF06F230
.long 0xBF8408E0
.long 0x864E1CFF, 0x0000007F
.long 0x804F14C1
.long 0xBF094F02
	;; [unrolled: 1-line block ×11, first 2 shown]
.long 0x864F1FFF, 0x0000007F
.long 0xBF06804F
.long 0xBF8408CF
	;; [unrolled: 1-line block ×3, first 2 shown]
.long 0xD3E18000, 0x04024100
.long 0xD9FE0040, 0x08000058
	;; [unrolled: 1-line block ×7, first 2 shown]
.long 0xBF8CC57F
.long 0xD3E18000, 0x04024502
.long 0xD9FE0180, 0x14000058
	;; [unrolled: 1-line block ×5, first 2 shown]
.long 0xBF8CC57F
.long 0xD3E18000, 0x04024908
.long 0xD9FE01C0, 0x1C000058
	;; [unrolled: 1-line block ×3, first 2 shown]
.long 0xBF8CC67F
.long 0xD3E18000, 0x04024D0A
.long 0xD3E18004, 0x04124D0E
.long 0xBF8CC37F
.long 0xD3E18000, 0x04025110
.long 0xD3E18004, 0x04125114
.long 0xBF8CC37F
.long 0xD3E18000, 0x04025512
.long 0xBF8CC07F
.long 0xBF8A0000
.long 0xD3E18004, 0x04125516
.long 0xBF8CC07F
.long 0xD3E18000, 0x04025918
.long 0xD3E18004, 0x0412591C
.long 0xBF8CC07F
.long 0xD3E18000, 0x04025D1A
.long 0xD3E18004, 0x04125D1E
	;; [unrolled: 1-line block ×3, first 2 shown]
.long 0x2008B486
.long 0x20020882
.long 0xD2850001, 0x00020290
.long 0x260AB48F
.long 0xD1FE0001, 0x02020305
.long 0xD2850002, 0x00005501
	;; [unrolled: 1-line block ×3, first 2 shown]
.long 0x260A0883
.long 0xD2850005, 0x00020A90
.long 0x2600B4BF
.long 0x20000084
	;; [unrolled: 1-line block ×3, first 2 shown]
.long 0xD1FE0000, 0x02060105
.long 0x923302FF, 0x00000080
.long 0x68000033
.long 0x92330390
	;; [unrolled: 1-line block ×4, first 2 shown]
.long 0xBEBB00FF, 0x00020000
.long 0xBEBA00FF, 0x80000000
.long 0x92330390
.long 0x963D2A33
.long 0x923C2A33
.long 0x8EBC813C
.long 0x80383C34
.long 0x82393D35
.long 0x963D042B
.long 0x923C042B
.long 0x8EBC813C
.long 0x80383C38
.long 0x82393D39
.long 0xD1FE000A, 0x02060103
.long 0xD1FE000B, 0x02060103
	;; [unrolled: 1-line block ×10, first 2 shown]
.long 0xBF800001
.long 0xE07CD000, 0x8003100A
.long 0xBF800000
.long 0x7E66055A
	;; [unrolled: 1-line block ×21, first 2 shown]
.long 0xC2330CCC, 0x00000000
.long 0x9645811C
.long 0x9244811C
	;; [unrolled: 1-line block ×26, first 2 shown]
.long 0x7E1C02FF, 0x80000000
.long 0xBEC40016
.long 0xBEC50017
	;; [unrolled: 1-line block ×4, first 2 shown]
.long 0xE05CD000, 0x8011100A
.long 0xE05CD010, 0x8011140A
.long 0xBE850032
.long 0x81858105
	;; [unrolled: 1-line block ×6, first 2 shown]
.long 0xD0C60042, 0x00000A80
.long 0xD100000F, 0x010A1D0A
.long 0xE05CD000, 0x80115C0F
.long 0xE05CD010, 0x8011600F
.long 0x81858105
.long 0x80444044
.long 0x82454145
.long 0xBF008005
.long 0xBF85079F
.long 0xD0C60042, 0x00000A80
.long 0xD100000F, 0x010A1D0A
.long 0xE05CD000, 0x8011640F
.long 0xE05CD010, 0x8011680F
.long 0x81858105
.long 0x80444044
.long 0x82454145
.long 0xBF008005
.long 0xBF850779
	;; [unrolled: 9-line block ×14, first 2 shown]
.long 0xD0C60042, 0x00000A80
.long 0xD100000F, 0x010A1D0A
.long 0xE05CD000, 0x8011CC0F
.long 0xE05CD010, 0x8011D00F
.long 0xBF8C0F7E
.long 0xD3B24010, 0x1802B910
.long 0xD3B24012, 0x1802BD12
.long 0xD3B24014, 0x1802C114
.long 0xD3B24016, 0x1802C516
.long 0x81858105
.long 0xBF05CE05
.long 0xBF8506F0
.long 0x80444044
.long 0x82454145
.long 0xD0C60042, 0x00000A80
.long 0xD100000F, 0x010A1D0A
.long 0xE05CD000, 0x80115C0F
.long 0xE05CD010, 0x8011600F
.long 0xBF8C0F7E
.long 0xD3B24010, 0x1802C910
.long 0xD3B24012, 0x1802CD12
.long 0xD3B24014, 0x1802D114
.long 0xD3B24016, 0x1802D516
.long 0x81858105
.long 0xBF05CE05
.long 0xBF8506DA
.long 0x80444044
.long 0x82454145
	;; [unrolled: 14-line block ×15, first 2 shown]
.long 0xD0C60042, 0x00000A80
.long 0xD100000F, 0x010A1D0A
.long 0xE05CD000, 0x8011CC0F
.long 0xE05CD010, 0x8011D00F
.long 0xBF02CE05
.long 0xBF85FEB4
.long 0xBE850032
.long 0xBF8C0F7E
.long 0xD3B24010, 0x1802B910
.long 0xD3B24012, 0x1802BD12
.long 0xD3B24014, 0x1802C114
.long 0xD3B24016, 0x1802C516
.long 0x81858105
.long 0xBF008105
.long 0xBF8505A3
.long 0xBF8C0F7D
	;; [unrolled: 8-line block ×16, first 2 shown]
.long 0xBF8C0F7D
.long 0xD3B24010, 0x1802B910
.long 0xD3B24012, 0x1802BD12
.long 0xD3B24014, 0x1802C114
.long 0xD3B24016, 0x1802C516
.long 0x81858105
.long 0xBF008105
.long 0xBF8504EE
.long 0xBF8C0F7C
.long 0xD3B24010, 0x1802C910
.long 0xD3B24012, 0x1802CD12
.long 0xD3B24014, 0x1802D114
.long 0xD3B24016, 0x1802D516
.long 0x81858105
.long 0xBF008105
.long 0xBF8504E2
	;; [unrolled: 8-line block ×14, first 2 shown]
.long 0xBE850032
.long 0xBF8C0F7C
.long 0xD3B24010, 0x1802B910
.long 0xD3B24012, 0x1802BD12
.long 0xD3B24014, 0x1802C114
.long 0xD3B24016, 0x1802C516
.long 0x81858105
.long 0xBF008105
.long 0xBF850445
.long 0xBF8C0F7B
.long 0xD3B24010, 0x1802C910
.long 0xD3B24012, 0x1802CD12
.long 0xD3B24014, 0x1802D114
.long 0xD3B24016, 0x1802D516
.long 0x81858105
.long 0xBF008105
	;; [unrolled: 8-line block ×13, first 2 shown]
.long 0xBF8503B5
.long 0xBE850032
.long 0xBF8C0F7B
.long 0xD3B24010, 0x1802B910
.long 0xD3B24012, 0x1802BD12
.long 0xD3B24014, 0x1802C114
.long 0xD3B24016, 0x1802C516
.long 0x81858105
.long 0xBF008105
.long 0xBF8503A8
.long 0xBF8C0F7A
.long 0xD3B24010, 0x1802C910
.long 0xD3B24012, 0x1802CD12
.long 0xD3B24014, 0x1802D114
.long 0xD3B24016, 0x1802D516
.long 0x81858105
	;; [unrolled: 8-line block ×12, first 2 shown]
.long 0xBF008105
.long 0xBF850324
.long 0xBE850032
.long 0xBF8C0F7A
.long 0xD3B24010, 0x1802B910
.long 0xD3B24012, 0x1802BD12
.long 0xD3B24014, 0x1802C114
.long 0xD3B24016, 0x1802C516
.long 0x81858105
.long 0xBF008105
.long 0xBF850317
.long 0xBF8C0F79
.long 0xD3B24010, 0x1802C910
.long 0xD3B24012, 0x1802CD12
.long 0xD3B24014, 0x1802D114
.long 0xD3B24016, 0x1802D516
	;; [unrolled: 8-line block ×11, first 2 shown]
.long 0x81858105
.long 0xBF008105
.long 0xBF85029F
.long 0xBE850032
.long 0xBF8C0F79
.long 0xD3B24010, 0x1802B910
.long 0xD3B24012, 0x1802BD12
.long 0xD3B24014, 0x1802C114
.long 0xD3B24016, 0x1802C516
.long 0x81858105
.long 0xBF008105
.long 0xBF850292
.long 0xBF8C0F78
.long 0xD3B24010, 0x1802C910
.long 0xD3B24012, 0x1802CD12
.long 0xD3B24014, 0x1802D114
.long 0xD3B24016, 0x1802D516
.long 0x81858105
.long 0xBF008105
.long 0xBF850286
.long 0xBF8C0F77
	;; [unrolled: 8-line block ×10, first 2 shown]
.long 0xBF8C0F78
.long 0xD3B24010, 0x1802B910
.long 0xD3B24012, 0x1802BD12
.long 0xD3B24014, 0x1802C114
.long 0xD3B24016, 0x1802C516
.long 0x81858105
.long 0xBF008105
.long 0xBF850219
.long 0xBF8C0F77
.long 0xD3B24010, 0x1802C910
.long 0xD3B24012, 0x1802CD12
.long 0xD3B24014, 0x1802D114
.long 0xD3B24016, 0x1802D516
.long 0x81858105
.long 0xBF008105
.long 0xBF85020D
	;; [unrolled: 8-line block ×9, first 2 shown]
.long 0xBE850032
.long 0xBF8C0F77
.long 0xD3B24010, 0x1802B910
.long 0xD3B24012, 0x1802BD12
.long 0xD3B24014, 0x1802C114
.long 0xD3B24016, 0x1802C516
.long 0x81858105
.long 0xBF008105
.long 0xBF8501AC
.long 0xBF8C0F76
.long 0xD3B24010, 0x1802C910
.long 0xD3B24012, 0x1802CD12
.long 0xD3B24014, 0x1802D114
.long 0xD3B24016, 0x1802D516
.long 0x81858105
.long 0xBF008105
	;; [unrolled: 8-line block ×8, first 2 shown]
.long 0xBF850158
.long 0xBE850032
.long 0xBF8C0F76
.long 0xD3B24010, 0x1802B910
.long 0xD3B24012, 0x1802BD12
.long 0xD3B24014, 0x1802C114
.long 0xD3B24016, 0x1802C516
.long 0x81858105
.long 0xBF008105
.long 0xBF85014B
.long 0xBF8C0F75
.long 0xD3B24010, 0x1802C910
.long 0xD3B24012, 0x1802CD12
.long 0xD3B24014, 0x1802D114
.long 0xD3B24016, 0x1802D516
.long 0x81858105
	;; [unrolled: 8-line block ×7, first 2 shown]
.long 0xBF008105
.long 0xBF850103
.long 0xBE850032
.long 0xBF8C0F75
.long 0xD3B24010, 0x1802B910
.long 0xD3B24012, 0x1802BD12
.long 0xD3B24014, 0x1802C114
.long 0xD3B24016, 0x1802C516
.long 0x81858105
.long 0xBF008105
.long 0xBF8500F6
.long 0xBF8C0F74
.long 0xD3B24010, 0x1802C910
.long 0xD3B24012, 0x1802CD12
.long 0xD3B24014, 0x1802D114
.long 0xD3B24016, 0x1802D516
	;; [unrolled: 8-line block ×6, first 2 shown]
.long 0x81858105
.long 0xBF008105
	;; [unrolled: 1-line block ×5, first 2 shown]
.long 0xD3B24010, 0x1802B910
.long 0xD3B24012, 0x1802BD12
.long 0xD3B24014, 0x1802C114
.long 0xD3B24016, 0x1802C516
.long 0x81858105
.long 0xBF008105
.long 0xBF8500AD
.long 0xBF8C0F73
.long 0xD3B24010, 0x1802C910
.long 0xD3B24012, 0x1802CD12
.long 0xD3B24014, 0x1802D114
.long 0xD3B24016, 0x1802D516
.long 0x81858105
.long 0xBF008105
.long 0xBF8500A1
.long 0xBF8C0F72
	;; [unrolled: 8-line block ×5, first 2 shown]
.long 0xBF8C0F73
.long 0xD3B24010, 0x1802B910
.long 0xD3B24012, 0x1802BD12
.long 0xD3B24014, 0x1802C114
.long 0xD3B24016, 0x1802C516
.long 0x81858105
.long 0xBF008105
.long 0xBF850070
.long 0xBF8C0F72
.long 0xD3B24010, 0x1802C910
.long 0xD3B24012, 0x1802CD12
.long 0xD3B24014, 0x1802D114
.long 0xD3B24016, 0x1802D516
.long 0x81858105
.long 0xBF008105
.long 0xBF850064
	;; [unrolled: 8-line block ×4, first 2 shown]
.long 0xBE850032
.long 0xBF8C0F72
.long 0xD3B24010, 0x1802B910
.long 0xD3B24012, 0x1802BD12
.long 0xD3B24014, 0x1802C114
.long 0xD3B24016, 0x1802C516
.long 0x81858105
.long 0xBF008105
.long 0xBF85003F
.long 0xBF8C0F71
.long 0xD3B24010, 0x1802C910
.long 0xD3B24012, 0x1802CD12
.long 0xD3B24014, 0x1802D114
.long 0xD3B24016, 0x1802D516
.long 0x81858105
.long 0xBF008105
	;; [unrolled: 8-line block ×3, first 2 shown]
.long 0xBF850027
.long 0xBE850032
	;; [unrolled: 1-line block ×3, first 2 shown]
.long 0xD3B24010, 0x1802B910
.long 0xD3B24012, 0x1802BD12
	;; [unrolled: 1-line block ×4, first 2 shown]
.long 0x81858105
.long 0xBF008105
	;; [unrolled: 1-line block ×4, first 2 shown]
.long 0xD3B24010, 0x1802C910
.long 0xD3B24012, 0x1802CD12
	;; [unrolled: 1-line block ×4, first 2 shown]
.long 0x81858105
.long 0xBF008105
	;; [unrolled: 1-line block ×5, first 2 shown]
.long 0xD3B24010, 0x1802B910
.long 0xD3B24012, 0x1802BD12
	;; [unrolled: 1-line block ×4, first 2 shown]
.long 0x81858105
.long 0xBF008105
	;; [unrolled: 1-line block ×4, first 2 shown]
.long 0x7E0E02FF, 0xFFFF0000
.long 0x7E1002FF, 0x7FFF0000
.long 0x7E1202FF, 0x00007FFF
.long 0xD048003C, 0x00022110
.long 0xD1C80006, 0x02052110
.long 0xD1FF0006, 0x04260D10
.long 0xD1000010, 0x00F21106
.long 0x20202090
.long 0xD048003C, 0x00022311
.long 0xD1C80006, 0x02052111
.long 0xD1FF0006, 0x04260D11
.long 0xD1000011, 0x00F21106
.long 0xD2010010, 0x04420F11
.long 0xD048003C, 0x00022512
.long 0xD1C80006, 0x02052112
.long 0xD1FF0006, 0x04260D12
.long 0xD1000012, 0x00F21106
.long 0x20242490
.long 0xD048003C, 0x00022713
.long 0xD1C80006, 0x02052113
	;; [unrolled: 10-line block ×4, first 2 shown]
.long 0xD1FF0006, 0x04260D17
.long 0xD1000017, 0x00F21106
	;; [unrolled: 1-line block ×4, first 2 shown]
.long 0xBF800000
.long 0xBF820000
	;; [unrolled: 1-line block ×4, first 2 shown]
.long 0xD3E18000, 0x04024100
.long 0xD9FE0040, 0x08000058
	;; [unrolled: 1-line block ×7, first 2 shown]
.long 0xBF8CC57F
.long 0xD3E18000, 0x04024502
.long 0xD9FE0180, 0x14000058
	;; [unrolled: 1-line block ×5, first 2 shown]
.long 0xBF8CC57F
.long 0xD3E18000, 0x04024908
.long 0xD9FE01C0, 0x1C000058
	;; [unrolled: 1-line block ×3, first 2 shown]
.long 0xBF8CC67F
.long 0xD3E18000, 0x04024D0A
.long 0xD3E18004, 0x04124D0E
.long 0xBF8CC37F
.long 0xD3E18000, 0x04025110
.long 0xD3E18004, 0x04125114
.long 0xBF8CC37F
.long 0xD3E18000, 0x04025512
.long 0xBF8CC07F
.long 0xBF8A0000
.long 0xD3E18004, 0x04125516
.long 0xBF8CC07F
.long 0xD3E18000, 0x04025918
.long 0xD3E18004, 0x0412591C
.long 0xBF8CC07F
.long 0xD3E18000, 0x04025D1A
.long 0xD3E18004, 0x04125D1E
	;; [unrolled: 1-line block ×3, first 2 shown]
.long 0xBF070706
.long 0xBE8A0280
	;; [unrolled: 1-line block ×27, first 2 shown]
.long 0xE0501000, 0x800D3432
.long 0xE0501004, 0x800D3532
	;; [unrolled: 1-line block ×36, first 2 shown]
.long 0xBF8C0F70
.long 0xBF8A0000
.long 0xD9BE0000, 0x00003430
.long 0xD9BE0440, 0x00003830
	;; [unrolled: 1-line block ×9, first 2 shown]
.long 0x2602B4BF
.long 0x2600028F
	;; [unrolled: 1-line block ×28, first 2 shown]
.long 0xBE8500FF, 0x00000080
.long 0xD2850002, 0x00020405
	;; [unrolled: 1-line block ×3, first 2 shown]
.long 0x2006B089
.long 0x24060685
	;; [unrolled: 1-line block ×5, first 2 shown]
.long 0xD2850000, 0x00020005
.long 0xD1FE0059, 0x02060300
.long 0x2004B288
.long 0x24040485
	;; [unrolled: 1-line block ×3, first 2 shown]
.long 0x32B2B2FF, 0x00008800
.long 0xBF8CC07F
.long 0xBF8A0000
.long 0xD8EC0000, 0x00000058
.long 0xD8EC0100, 0x02000058
	;; [unrolled: 1-line block ×3, first 2 shown]
.long 0xBE8500A0
.long 0x32B0B005
	;; [unrolled: 1-line block ×7, first 2 shown]
.long 0xD0C6004E, 0x00001530
.long 0xD1000000, 0x01390100
	;; [unrolled: 1-line block ×7, first 2 shown]
.long 0xBF800001
.long 0xD3E18000, 0x04024100
.long 0xD3E18004, 0x04124102
.long 0x818A900A
.long 0x800B900B
	;; [unrolled: 1-line block ×4, first 2 shown]
.long 0xC00A0D00, 0x0000005C
.long 0x2008B486
.long 0x20020882
.long 0xD2850001, 0x00020290
.long 0x260AB48F
.long 0xD1FE0001, 0x02020305
.long 0xD2850002, 0x00005501
	;; [unrolled: 1-line block ×3, first 2 shown]
.long 0x260A0883
.long 0xD2850005, 0x00020A90
.long 0x2600B4BF
.long 0x20000084
.long 0x24000082
.long 0xD1FE0000, 0x02060105
.long 0x923302FF, 0x00000080
.long 0x68000033
.long 0x92330390
	;; [unrolled: 1-line block ×4, first 2 shown]
.long 0xBEBB00FF, 0x00020000
.long 0xBEBA00FF, 0x80000000
.long 0x92330390
.long 0x963D2A33
	;; [unrolled: 1-line block ×13, first 2 shown]
.long 0x863C1CFF, 0x0000007F
.long 0x803D14C1
.long 0xBF093D02
	;; [unrolled: 1-line block ×11, first 2 shown]
.long 0xD1FE000A, 0x020A0103
.long 0xD1FE000B, 0x02060103
	;; [unrolled: 1-line block ×10, first 2 shown]
.long 0xBF800001
.long 0xE07CD000, 0x8003100A
.long 0xE07CD010, 0x8003140A
.long 0xBF800000
.long 0x7E66055A
	;; [unrolled: 1-line block ×21, first 2 shown]
.long 0xC2330CCC, 0x00000000
.long 0x9645811C
.long 0x9244811C
	;; [unrolled: 1-line block ×26, first 2 shown]
.long 0x7E1C02FF, 0x80000000
.long 0xBEC40016
.long 0xBEC50017
	;; [unrolled: 1-line block ×4, first 2 shown]
.long 0xE05CD000, 0x8011100A
.long 0xE05CD010, 0x8011140A
.long 0xBE850032
.long 0x81858105
	;; [unrolled: 1-line block ×6, first 2 shown]
.long 0xD0C60042, 0x00000A80
.long 0xD100000F, 0x010A1D0A
.long 0xE05CD000, 0x80115C0F
.long 0xE05CD010, 0x8011600F
.long 0x81858105
.long 0x80444044
.long 0x82454145
.long 0xBF008005
.long 0xBF85079F
.long 0xD0C60042, 0x00000A80
.long 0xD100000F, 0x010A1D0A
.long 0xE05CD000, 0x8011640F
.long 0xE05CD010, 0x8011680F
.long 0x81858105
.long 0x80444044
.long 0x82454145
.long 0xBF008005
.long 0xBF850779
	;; [unrolled: 9-line block ×14, first 2 shown]
.long 0xD0C60042, 0x00000A80
.long 0xD100000F, 0x010A1D0A
.long 0xE05CD000, 0x8011CC0F
.long 0xE05CD010, 0x8011D00F
.long 0xBF8C0F7E
.long 0xD3B24010, 0x1802B910
.long 0xD3B24012, 0x1802BD12
.long 0xD3B24014, 0x1802C114
.long 0xD3B24016, 0x1802C516
.long 0x81858105
.long 0xBF05CE05
.long 0xBF8506F0
.long 0x80444044
.long 0x82454145
.long 0xD0C60042, 0x00000A80
.long 0xD100000F, 0x010A1D0A
.long 0xE05CD000, 0x80115C0F
.long 0xE05CD010, 0x8011600F
.long 0xBF8C0F7E
.long 0xD3B24010, 0x1802C910
.long 0xD3B24012, 0x1802CD12
.long 0xD3B24014, 0x1802D114
.long 0xD3B24016, 0x1802D516
.long 0x81858105
.long 0xBF05CE05
.long 0xBF8506DA
.long 0x80444044
.long 0x82454145
	;; [unrolled: 14-line block ×15, first 2 shown]
.long 0xD0C60042, 0x00000A80
.long 0xD100000F, 0x010A1D0A
.long 0xE05CD000, 0x8011CC0F
.long 0xE05CD010, 0x8011D00F
.long 0xBF02CE05
.long 0xBF85FEB4
.long 0xBE850032
.long 0xBF8C0F7E
.long 0xD3B24010, 0x1802B910
.long 0xD3B24012, 0x1802BD12
.long 0xD3B24014, 0x1802C114
.long 0xD3B24016, 0x1802C516
.long 0x81858105
.long 0xBF008105
.long 0xBF8505A3
.long 0xBF8C0F7D
	;; [unrolled: 8-line block ×16, first 2 shown]
.long 0xBF8C0F7D
.long 0xD3B24010, 0x1802B910
.long 0xD3B24012, 0x1802BD12
.long 0xD3B24014, 0x1802C114
.long 0xD3B24016, 0x1802C516
.long 0x81858105
.long 0xBF008105
.long 0xBF8504EE
.long 0xBF8C0F7C
.long 0xD3B24010, 0x1802C910
.long 0xD3B24012, 0x1802CD12
.long 0xD3B24014, 0x1802D114
.long 0xD3B24016, 0x1802D516
.long 0x81858105
.long 0xBF008105
.long 0xBF8504E2
	;; [unrolled: 8-line block ×14, first 2 shown]
.long 0xBE850032
.long 0xBF8C0F7C
.long 0xD3B24010, 0x1802B910
.long 0xD3B24012, 0x1802BD12
.long 0xD3B24014, 0x1802C114
.long 0xD3B24016, 0x1802C516
.long 0x81858105
.long 0xBF008105
.long 0xBF850445
.long 0xBF8C0F7B
.long 0xD3B24010, 0x1802C910
.long 0xD3B24012, 0x1802CD12
.long 0xD3B24014, 0x1802D114
.long 0xD3B24016, 0x1802D516
.long 0x81858105
.long 0xBF008105
	;; [unrolled: 8-line block ×13, first 2 shown]
.long 0xBF8503B5
.long 0xBE850032
.long 0xBF8C0F7B
.long 0xD3B24010, 0x1802B910
.long 0xD3B24012, 0x1802BD12
.long 0xD3B24014, 0x1802C114
.long 0xD3B24016, 0x1802C516
.long 0x81858105
.long 0xBF008105
.long 0xBF8503A8
.long 0xBF8C0F7A
.long 0xD3B24010, 0x1802C910
.long 0xD3B24012, 0x1802CD12
.long 0xD3B24014, 0x1802D114
.long 0xD3B24016, 0x1802D516
.long 0x81858105
	;; [unrolled: 8-line block ×12, first 2 shown]
.long 0xBF008105
.long 0xBF850324
.long 0xBE850032
.long 0xBF8C0F7A
.long 0xD3B24010, 0x1802B910
.long 0xD3B24012, 0x1802BD12
.long 0xD3B24014, 0x1802C114
.long 0xD3B24016, 0x1802C516
.long 0x81858105
.long 0xBF008105
.long 0xBF850317
.long 0xBF8C0F79
.long 0xD3B24010, 0x1802C910
.long 0xD3B24012, 0x1802CD12
.long 0xD3B24014, 0x1802D114
.long 0xD3B24016, 0x1802D516
	;; [unrolled: 8-line block ×11, first 2 shown]
.long 0x81858105
.long 0xBF008105
	;; [unrolled: 1-line block ×5, first 2 shown]
.long 0xD3B24010, 0x1802B910
.long 0xD3B24012, 0x1802BD12
.long 0xD3B24014, 0x1802C114
.long 0xD3B24016, 0x1802C516
.long 0x81858105
.long 0xBF008105
.long 0xBF850292
.long 0xBF8C0F78
.long 0xD3B24010, 0x1802C910
.long 0xD3B24012, 0x1802CD12
.long 0xD3B24014, 0x1802D114
.long 0xD3B24016, 0x1802D516
.long 0x81858105
.long 0xBF008105
.long 0xBF850286
.long 0xBF8C0F77
	;; [unrolled: 8-line block ×10, first 2 shown]
.long 0xBF8C0F78
.long 0xD3B24010, 0x1802B910
.long 0xD3B24012, 0x1802BD12
.long 0xD3B24014, 0x1802C114
.long 0xD3B24016, 0x1802C516
.long 0x81858105
.long 0xBF008105
.long 0xBF850219
.long 0xBF8C0F77
.long 0xD3B24010, 0x1802C910
.long 0xD3B24012, 0x1802CD12
.long 0xD3B24014, 0x1802D114
.long 0xD3B24016, 0x1802D516
.long 0x81858105
.long 0xBF008105
.long 0xBF85020D
	;; [unrolled: 8-line block ×9, first 2 shown]
.long 0xBE850032
.long 0xBF8C0F77
.long 0xD3B24010, 0x1802B910
.long 0xD3B24012, 0x1802BD12
.long 0xD3B24014, 0x1802C114
.long 0xD3B24016, 0x1802C516
.long 0x81858105
.long 0xBF008105
.long 0xBF8501AC
.long 0xBF8C0F76
.long 0xD3B24010, 0x1802C910
.long 0xD3B24012, 0x1802CD12
.long 0xD3B24014, 0x1802D114
.long 0xD3B24016, 0x1802D516
.long 0x81858105
.long 0xBF008105
	;; [unrolled: 8-line block ×8, first 2 shown]
.long 0xBF850158
.long 0xBE850032
.long 0xBF8C0F76
.long 0xD3B24010, 0x1802B910
.long 0xD3B24012, 0x1802BD12
.long 0xD3B24014, 0x1802C114
.long 0xD3B24016, 0x1802C516
.long 0x81858105
.long 0xBF008105
.long 0xBF85014B
.long 0xBF8C0F75
.long 0xD3B24010, 0x1802C910
.long 0xD3B24012, 0x1802CD12
.long 0xD3B24014, 0x1802D114
.long 0xD3B24016, 0x1802D516
.long 0x81858105
	;; [unrolled: 8-line block ×7, first 2 shown]
.long 0xBF008105
.long 0xBF850103
.long 0xBE850032
.long 0xBF8C0F75
.long 0xD3B24010, 0x1802B910
.long 0xD3B24012, 0x1802BD12
.long 0xD3B24014, 0x1802C114
.long 0xD3B24016, 0x1802C516
.long 0x81858105
.long 0xBF008105
.long 0xBF8500F6
.long 0xBF8C0F74
.long 0xD3B24010, 0x1802C910
.long 0xD3B24012, 0x1802CD12
.long 0xD3B24014, 0x1802D114
.long 0xD3B24016, 0x1802D516
	;; [unrolled: 8-line block ×6, first 2 shown]
.long 0x81858105
.long 0xBF008105
	;; [unrolled: 1-line block ×5, first 2 shown]
.long 0xD3B24010, 0x1802B910
.long 0xD3B24012, 0x1802BD12
.long 0xD3B24014, 0x1802C114
.long 0xD3B24016, 0x1802C516
.long 0x81858105
.long 0xBF008105
.long 0xBF8500AD
.long 0xBF8C0F73
.long 0xD3B24010, 0x1802C910
.long 0xD3B24012, 0x1802CD12
.long 0xD3B24014, 0x1802D114
.long 0xD3B24016, 0x1802D516
.long 0x81858105
.long 0xBF008105
.long 0xBF8500A1
.long 0xBF8C0F72
	;; [unrolled: 8-line block ×5, first 2 shown]
.long 0xBF8C0F73
.long 0xD3B24010, 0x1802B910
.long 0xD3B24012, 0x1802BD12
.long 0xD3B24014, 0x1802C114
.long 0xD3B24016, 0x1802C516
.long 0x81858105
.long 0xBF008105
.long 0xBF850070
.long 0xBF8C0F72
.long 0xD3B24010, 0x1802C910
.long 0xD3B24012, 0x1802CD12
.long 0xD3B24014, 0x1802D114
.long 0xD3B24016, 0x1802D516
.long 0x81858105
.long 0xBF008105
.long 0xBF850064
	;; [unrolled: 8-line block ×4, first 2 shown]
.long 0xBE850032
.long 0xBF8C0F72
.long 0xD3B24010, 0x1802B910
.long 0xD3B24012, 0x1802BD12
.long 0xD3B24014, 0x1802C114
.long 0xD3B24016, 0x1802C516
.long 0x81858105
.long 0xBF008105
.long 0xBF85003F
.long 0xBF8C0F71
.long 0xD3B24010, 0x1802C910
.long 0xD3B24012, 0x1802CD12
.long 0xD3B24014, 0x1802D114
.long 0xD3B24016, 0x1802D516
.long 0x81858105
.long 0xBF008105
	;; [unrolled: 8-line block ×3, first 2 shown]
.long 0xBF850027
.long 0xBE850032
	;; [unrolled: 1-line block ×3, first 2 shown]
.long 0xD3B24010, 0x1802B910
.long 0xD3B24012, 0x1802BD12
	;; [unrolled: 1-line block ×4, first 2 shown]
.long 0x81858105
.long 0xBF008105
	;; [unrolled: 1-line block ×4, first 2 shown]
.long 0xD3B24010, 0x1802C910
.long 0xD3B24012, 0x1802CD12
	;; [unrolled: 1-line block ×4, first 2 shown]
.long 0x81858105
.long 0xBF008105
	;; [unrolled: 1-line block ×5, first 2 shown]
.long 0xD3B24010, 0x1802B910
.long 0xD3B24012, 0x1802BD12
	;; [unrolled: 1-line block ×4, first 2 shown]
.long 0x81858105
.long 0xBF008105
	;; [unrolled: 1-line block ×12, first 2 shown]
.long 0x7E0E02FF, 0xFFFF0000
.long 0x7E1002FF, 0x7FFF0000
.long 0x7E1202FF, 0x00007FFF
.long 0xD048003C, 0x00022110
.long 0xD1C80006, 0x02052110
.long 0xD1FF0006, 0x04260D10
.long 0xD1000010, 0x00F21106
.long 0x20202090
.long 0xD048003C, 0x00022311
.long 0xD1C80006, 0x02052111
.long 0xD1FF0006, 0x04260D11
.long 0xD1000011, 0x00F21106
.long 0xD2010010, 0x04420F11
.long 0xD048003C, 0x00022512
.long 0xD1C80006, 0x02052112
.long 0xD1FF0006, 0x04260D12
.long 0xD1000012, 0x00F21106
.long 0x20242490
.long 0xD048003C, 0x00022713
.long 0xD1C80006, 0x02052113
	;; [unrolled: 10-line block ×4, first 2 shown]
.long 0xD1FF0006, 0x04260D17
.long 0xD1000017, 0x00F21106
	;; [unrolled: 1-line block ×4, first 2 shown]
.long 0xBF800000
.long 0xBF8219B4
.long 0x7E1802FF, 0x80000000
.long 0xD0C9003C, 0x00003900
	;; [unrolled: 1-line block ×3, first 2 shown]
.long 0x86C0403C
.long 0xD1FE000A, 0x020A0103
.long 0xD100000A, 0x0102150C
	;; [unrolled: 1-line block ×12, first 2 shown]
.long 0xBF800001
.long 0xE07CD000, 0x8003100A
.long 0xE07CD010, 0x8003140A
.long 0xBF800000
.long 0x7E66055A
	;; [unrolled: 1-line block ×21, first 2 shown]
.long 0xC2330CCC, 0x00000000
.long 0x9649811C
.long 0x9248811C
	;; [unrolled: 1-line block ×26, first 2 shown]
.long 0x7E1A02FF, 0x80000000
.long 0xBEC80016
.long 0xBEC90017
	;; [unrolled: 1-line block ×4, first 2 shown]
.long 0xE05CD000, 0x8012100A
.long 0xE05CD010, 0x8012140A
.long 0xBE850032
.long 0x81858105
	;; [unrolled: 1-line block ×6, first 2 shown]
.long 0xD0C60046, 0x00000A80
.long 0xD100000E, 0x011A1B0A
.long 0xE05CD000, 0x80125C0E
.long 0xE05CD010, 0x8012600E
.long 0x81858105
.long 0x80484448
.long 0x82494549
.long 0xBF008005
.long 0xBF85079F
.long 0xD0C60046, 0x00000A80
.long 0xD100000E, 0x011A1B0A
.long 0xE05CD000, 0x8012640E
.long 0xE05CD010, 0x8012680E
.long 0x81858105
.long 0x80484448
.long 0x82494549
.long 0xBF008005
.long 0xBF850779
	;; [unrolled: 9-line block ×14, first 2 shown]
.long 0xD0C60046, 0x00000A80
.long 0xD100000E, 0x011A1B0A
.long 0xE05CD000, 0x8012CC0E
.long 0xE05CD010, 0x8012D00E
.long 0xBF8C0F7E
.long 0xD3B24010, 0x1802B910
.long 0xD3B24012, 0x1802BD12
.long 0xD3B24014, 0x1802C114
.long 0xD3B24016, 0x1802C516
.long 0x81858105
.long 0xBF05CE05
.long 0xBF8506F0
.long 0x80484448
.long 0x82494549
.long 0xD0C60046, 0x00000A80
.long 0xD100000E, 0x011A1B0A
.long 0xE05CD000, 0x80125C0E
.long 0xE05CD010, 0x8012600E
.long 0xBF8C0F7E
.long 0xD3B24010, 0x1802C910
.long 0xD3B24012, 0x1802CD12
.long 0xD3B24014, 0x1802D114
.long 0xD3B24016, 0x1802D516
.long 0x81858105
.long 0xBF05CE05
.long 0xBF8506DA
.long 0x80484448
.long 0x82494549
	;; [unrolled: 14-line block ×15, first 2 shown]
.long 0xD0C60046, 0x00000A80
.long 0xD100000E, 0x011A1B0A
.long 0xE05CD000, 0x8012CC0E
.long 0xE05CD010, 0x8012D00E
.long 0xBF02CE05
.long 0xBF85FEB4
.long 0xBE850032
.long 0xBF8C0F7E
.long 0xD3B24010, 0x1802B910
.long 0xD3B24012, 0x1802BD12
.long 0xD3B24014, 0x1802C114
.long 0xD3B24016, 0x1802C516
.long 0x81858105
.long 0xBF008105
.long 0xBF8505A3
.long 0xBF8C0F7D
	;; [unrolled: 8-line block ×16, first 2 shown]
.long 0xBF8C0F7D
.long 0xD3B24010, 0x1802B910
.long 0xD3B24012, 0x1802BD12
.long 0xD3B24014, 0x1802C114
.long 0xD3B24016, 0x1802C516
.long 0x81858105
.long 0xBF008105
.long 0xBF8504EE
.long 0xBF8C0F7C
.long 0xD3B24010, 0x1802C910
.long 0xD3B24012, 0x1802CD12
.long 0xD3B24014, 0x1802D114
.long 0xD3B24016, 0x1802D516
.long 0x81858105
.long 0xBF008105
.long 0xBF8504E2
	;; [unrolled: 8-line block ×14, first 2 shown]
.long 0xBE850032
.long 0xBF8C0F7C
.long 0xD3B24010, 0x1802B910
.long 0xD3B24012, 0x1802BD12
.long 0xD3B24014, 0x1802C114
.long 0xD3B24016, 0x1802C516
.long 0x81858105
.long 0xBF008105
.long 0xBF850445
.long 0xBF8C0F7B
.long 0xD3B24010, 0x1802C910
.long 0xD3B24012, 0x1802CD12
.long 0xD3B24014, 0x1802D114
.long 0xD3B24016, 0x1802D516
.long 0x81858105
.long 0xBF008105
	;; [unrolled: 8-line block ×13, first 2 shown]
.long 0xBF8503B5
.long 0xBE850032
.long 0xBF8C0F7B
.long 0xD3B24010, 0x1802B910
.long 0xD3B24012, 0x1802BD12
.long 0xD3B24014, 0x1802C114
.long 0xD3B24016, 0x1802C516
.long 0x81858105
.long 0xBF008105
.long 0xBF8503A8
.long 0xBF8C0F7A
.long 0xD3B24010, 0x1802C910
.long 0xD3B24012, 0x1802CD12
.long 0xD3B24014, 0x1802D114
.long 0xD3B24016, 0x1802D516
.long 0x81858105
	;; [unrolled: 8-line block ×12, first 2 shown]
.long 0xBF008105
.long 0xBF850324
.long 0xBE850032
.long 0xBF8C0F7A
.long 0xD3B24010, 0x1802B910
.long 0xD3B24012, 0x1802BD12
.long 0xD3B24014, 0x1802C114
.long 0xD3B24016, 0x1802C516
.long 0x81858105
.long 0xBF008105
.long 0xBF850317
.long 0xBF8C0F79
.long 0xD3B24010, 0x1802C910
.long 0xD3B24012, 0x1802CD12
.long 0xD3B24014, 0x1802D114
.long 0xD3B24016, 0x1802D516
	;; [unrolled: 8-line block ×11, first 2 shown]
.long 0x81858105
.long 0xBF008105
	;; [unrolled: 1-line block ×5, first 2 shown]
.long 0xD3B24010, 0x1802B910
.long 0xD3B24012, 0x1802BD12
.long 0xD3B24014, 0x1802C114
.long 0xD3B24016, 0x1802C516
.long 0x81858105
.long 0xBF008105
.long 0xBF850292
.long 0xBF8C0F78
.long 0xD3B24010, 0x1802C910
.long 0xD3B24012, 0x1802CD12
.long 0xD3B24014, 0x1802D114
.long 0xD3B24016, 0x1802D516
.long 0x81858105
.long 0xBF008105
.long 0xBF850286
.long 0xBF8C0F77
	;; [unrolled: 8-line block ×10, first 2 shown]
.long 0xBF8C0F78
.long 0xD3B24010, 0x1802B910
.long 0xD3B24012, 0x1802BD12
.long 0xD3B24014, 0x1802C114
.long 0xD3B24016, 0x1802C516
.long 0x81858105
.long 0xBF008105
.long 0xBF850219
.long 0xBF8C0F77
.long 0xD3B24010, 0x1802C910
.long 0xD3B24012, 0x1802CD12
.long 0xD3B24014, 0x1802D114
.long 0xD3B24016, 0x1802D516
.long 0x81858105
.long 0xBF008105
.long 0xBF85020D
	;; [unrolled: 8-line block ×9, first 2 shown]
.long 0xBE850032
.long 0xBF8C0F77
.long 0xD3B24010, 0x1802B910
.long 0xD3B24012, 0x1802BD12
.long 0xD3B24014, 0x1802C114
.long 0xD3B24016, 0x1802C516
.long 0x81858105
.long 0xBF008105
.long 0xBF8501AC
.long 0xBF8C0F76
.long 0xD3B24010, 0x1802C910
.long 0xD3B24012, 0x1802CD12
.long 0xD3B24014, 0x1802D114
.long 0xD3B24016, 0x1802D516
.long 0x81858105
.long 0xBF008105
	;; [unrolled: 8-line block ×8, first 2 shown]
.long 0xBF850158
.long 0xBE850032
.long 0xBF8C0F76
.long 0xD3B24010, 0x1802B910
.long 0xD3B24012, 0x1802BD12
.long 0xD3B24014, 0x1802C114
.long 0xD3B24016, 0x1802C516
.long 0x81858105
.long 0xBF008105
.long 0xBF85014B
.long 0xBF8C0F75
.long 0xD3B24010, 0x1802C910
.long 0xD3B24012, 0x1802CD12
.long 0xD3B24014, 0x1802D114
.long 0xD3B24016, 0x1802D516
.long 0x81858105
	;; [unrolled: 8-line block ×7, first 2 shown]
.long 0xBF008105
.long 0xBF850103
.long 0xBE850032
.long 0xBF8C0F75
.long 0xD3B24010, 0x1802B910
.long 0xD3B24012, 0x1802BD12
.long 0xD3B24014, 0x1802C114
.long 0xD3B24016, 0x1802C516
.long 0x81858105
.long 0xBF008105
.long 0xBF8500F6
.long 0xBF8C0F74
.long 0xD3B24010, 0x1802C910
.long 0xD3B24012, 0x1802CD12
.long 0xD3B24014, 0x1802D114
.long 0xD3B24016, 0x1802D516
	;; [unrolled: 8-line block ×6, first 2 shown]
.long 0x81858105
.long 0xBF008105
	;; [unrolled: 1-line block ×5, first 2 shown]
.long 0xD3B24010, 0x1802B910
.long 0xD3B24012, 0x1802BD12
.long 0xD3B24014, 0x1802C114
.long 0xD3B24016, 0x1802C516
.long 0x81858105
.long 0xBF008105
.long 0xBF8500AD
.long 0xBF8C0F73
.long 0xD3B24010, 0x1802C910
.long 0xD3B24012, 0x1802CD12
.long 0xD3B24014, 0x1802D114
.long 0xD3B24016, 0x1802D516
.long 0x81858105
.long 0xBF008105
.long 0xBF8500A1
.long 0xBF8C0F72
	;; [unrolled: 8-line block ×5, first 2 shown]
.long 0xBF8C0F73
.long 0xD3B24010, 0x1802B910
.long 0xD3B24012, 0x1802BD12
.long 0xD3B24014, 0x1802C114
.long 0xD3B24016, 0x1802C516
.long 0x81858105
.long 0xBF008105
.long 0xBF850070
.long 0xBF8C0F72
.long 0xD3B24010, 0x1802C910
.long 0xD3B24012, 0x1802CD12
.long 0xD3B24014, 0x1802D114
.long 0xD3B24016, 0x1802D516
.long 0x81858105
.long 0xBF008105
.long 0xBF850064
	;; [unrolled: 8-line block ×4, first 2 shown]
.long 0xBE850032
.long 0xBF8C0F72
.long 0xD3B24010, 0x1802B910
.long 0xD3B24012, 0x1802BD12
.long 0xD3B24014, 0x1802C114
.long 0xD3B24016, 0x1802C516
.long 0x81858105
.long 0xBF008105
.long 0xBF85003F
.long 0xBF8C0F71
.long 0xD3B24010, 0x1802C910
.long 0xD3B24012, 0x1802CD12
.long 0xD3B24014, 0x1802D114
.long 0xD3B24016, 0x1802D516
.long 0x81858105
.long 0xBF008105
	;; [unrolled: 8-line block ×3, first 2 shown]
.long 0xBF850027
.long 0xBE850032
	;; [unrolled: 1-line block ×3, first 2 shown]
.long 0xD3B24010, 0x1802B910
.long 0xD3B24012, 0x1802BD12
	;; [unrolled: 1-line block ×4, first 2 shown]
.long 0x81858105
.long 0xBF008105
	;; [unrolled: 1-line block ×4, first 2 shown]
.long 0xD3B24010, 0x1802C910
.long 0xD3B24012, 0x1802CD12
	;; [unrolled: 1-line block ×4, first 2 shown]
.long 0x81858105
.long 0xBF008105
.long 0xBF85000E
.long 0xBE850032
.long 0xBF8C0F70
.long 0xD3B24010, 0x1802B910
.long 0xD3B24012, 0x1802BD12
.long 0xD3B24014, 0x1802C114
.long 0xD3B24016, 0x1802C516
.long 0x81858105
.long 0xBF008105
	;; [unrolled: 1-line block ×12, first 2 shown]
.long 0x7E0E02FF, 0xFFFF0000
.long 0x7E1002FF, 0x7FFF0000
.long 0x7E1202FF, 0x00007FFF
.long 0xD048003C, 0x00022110
.long 0xD1C80006, 0x02052110
.long 0xD1FF0006, 0x04260D10
.long 0xD1000010, 0x00F21106
.long 0x20202090
.long 0xD048003C, 0x00022311
.long 0xD1C80006, 0x02052111
.long 0xD1FF0006, 0x04260D11
.long 0xD1000011, 0x00F21106
.long 0xD2010010, 0x04420F11
.long 0xD048003C, 0x00022512
.long 0xD1C80006, 0x02052112
.long 0xD1FF0006, 0x04260D12
.long 0xD1000012, 0x00F21106
.long 0x20242490
.long 0xD048003C, 0x00022713
.long 0xD1C80006, 0x02052113
.long 0xD1FF0006, 0x04260D13
.long 0xD1000013, 0x00F21106
.long 0xD2010011, 0x044A0F13
.long 0xD048003C, 0x00022914
.long 0xD1C80006, 0x02052114
.long 0xD1FF0006, 0x04260D14
.long 0xD1000014, 0x00F21106
.long 0x20282890
.long 0xD048003C, 0x00022B15
.long 0xD1C80006, 0x02052115
.long 0xD1FF0006, 0x04260D15
.long 0xD1000015, 0x00F21106
.long 0xD2010012, 0x04520F15
.long 0xD048003C, 0x00022D16
.long 0xD1C80006, 0x02052116
.long 0xD1FF0006, 0x04260D16
.long 0xD1000016, 0x00F21106
.long 0x202C2C90
.long 0xD048003C, 0x00022F17
.long 0xD1C80006, 0x02052117
.long 0xD1FF0006, 0x04260D17
.long 0xD1000017, 0x00F21106
	;; [unrolled: 1-line block ×4, first 2 shown]
.long 0xBF800000
.long 0xBF821137
.long 0x863C1CFF, 0x0000007F
.long 0x803D14C1
.long 0xBF093D02
	;; [unrolled: 1-line block ×11, first 2 shown]
.long 0xD1FE000C, 0x02060102
.long 0xE05C1000, 0x8004100C
	;; [unrolled: 1-line block ×12, first 2 shown]
.long 0xBF800001
.long 0xE07CD000, 0x8003180A
.long 0xE07CD010, 0x80031C0A
.long 0xBF800000
.long 0x7E66055A
	;; [unrolled: 1-line block ×21, first 2 shown]
.long 0xC2330CCC, 0x00000000
.long 0x9645811C
.long 0x9244811C
	;; [unrolled: 1-line block ×26, first 2 shown]
.long 0x7E1C02FF, 0x80000000
.long 0xBEC40016
.long 0xBEC50017
	;; [unrolled: 1-line block ×4, first 2 shown]
.long 0xE05CD000, 0x8011180A
.long 0xE05CD010, 0x80111C0A
.long 0xBE850032
.long 0x81858105
	;; [unrolled: 1-line block ×6, first 2 shown]
.long 0xD0C60042, 0x00000A80
.long 0xD100000F, 0x010A1D0A
.long 0xE05CD000, 0x80115C0F
.long 0xE05CD010, 0x8011600F
.long 0x81858105
.long 0x80444044
.long 0x82454145
.long 0xBF008005
.long 0xBF85079F
.long 0xD0C60042, 0x00000A80
.long 0xD100000F, 0x010A1D0A
.long 0xE05CD000, 0x8011640F
.long 0xE05CD010, 0x8011680F
.long 0x81858105
.long 0x80444044
.long 0x82454145
.long 0xBF008005
.long 0xBF850779
	;; [unrolled: 9-line block ×14, first 2 shown]
.long 0xD0C60042, 0x00000A80
.long 0xD100000F, 0x010A1D0A
.long 0xE05CD000, 0x8011CC0F
.long 0xE05CD010, 0x8011D00F
.long 0xBF8C0F7E
.long 0xD3B24018, 0x1802B918
.long 0xD3B2401A, 0x1802BD1A
.long 0xD3B2401C, 0x1802C11C
.long 0xD3B2401E, 0x1802C51E
.long 0x81858105
.long 0xBF05CE05
.long 0xBF8506F0
.long 0x80444044
.long 0x82454145
.long 0xD0C60042, 0x00000A80
.long 0xD100000F, 0x010A1D0A
.long 0xE05CD000, 0x80115C0F
.long 0xE05CD010, 0x8011600F
.long 0xBF8C0F7E
.long 0xD3B24018, 0x1802C918
.long 0xD3B2401A, 0x1802CD1A
.long 0xD3B2401C, 0x1802D11C
.long 0xD3B2401E, 0x1802D51E
.long 0x81858105
.long 0xBF05CE05
.long 0xBF8506DA
.long 0x80444044
.long 0x82454145
	;; [unrolled: 14-line block ×15, first 2 shown]
.long 0xD0C60042, 0x00000A80
.long 0xD100000F, 0x010A1D0A
.long 0xE05CD000, 0x8011CC0F
.long 0xE05CD010, 0x8011D00F
.long 0xBF02CE05
.long 0xBF85FEB4
.long 0xBE850032
.long 0xBF8C0F7E
.long 0xD3B24018, 0x1802B918
.long 0xD3B2401A, 0x1802BD1A
.long 0xD3B2401C, 0x1802C11C
.long 0xD3B2401E, 0x1802C51E
.long 0x81858105
.long 0xBF008105
.long 0xBF8505A3
.long 0xBF8C0F7D
.long 0xD3B24018, 0x1802C918
.long 0xD3B2401A, 0x1802CD1A
.long 0xD3B2401C, 0x1802D11C
.long 0xD3B2401E, 0x1802D51E
.long 0x81858105
.long 0xBF008105
.long 0xBF850597
.long 0xBF8C0F7C
.long 0xD3B24018, 0x1802D918
.long 0xD3B2401A, 0x1802DD1A
.long 0xD3B2401C, 0x1802E11C
.long 0xD3B2401E, 0x1802E51E
.long 0x81858105
.long 0xBF008105
.long 0xBF85058B
.long 0xBF8C0F7B
.long 0xD3B24018, 0x1802E918
.long 0xD3B2401A, 0x1802ED1A
.long 0xD3B2401C, 0x1802F11C
.long 0xD3B2401E, 0x1802F51E
.long 0x81858105
.long 0xBF008105
.long 0xBF85057F
.long 0xBF8C0F7A
.long 0xD3B24018, 0x1802F918
.long 0xD3B2401A, 0x1802FD1A
.long 0xD3B2401C, 0x1803011C
.long 0xD3B2401E, 0x1803051E
.long 0x81858105
.long 0xBF008105
.long 0xBF850573
.long 0xBF8C0F79
.long 0xD3B24018, 0x18030918
.long 0xD3B2401A, 0x18030D1A
.long 0xD3B2401C, 0x1803111C
.long 0xD3B2401E, 0x1803151E
.long 0x81858105
.long 0xBF008105
.long 0xBF850567
.long 0xBF8C0F78
.long 0xD3B24018, 0x18031918
.long 0xD3B2401A, 0x18031D1A
.long 0xD3B2401C, 0x1803211C
.long 0xD3B2401E, 0x1803251E
.long 0x81858105
.long 0xBF008105
.long 0xBF85055B
.long 0xBF8C0F77
.long 0xD3B24018, 0x18032918
.long 0xD3B2401A, 0x18032D1A
.long 0xD3B2401C, 0x1803311C
.long 0xD3B2401E, 0x1803351E
.long 0x81858105
.long 0xBF008105
.long 0xBF85054F
.long 0xBF8C0F76
.long 0xD3B24018, 0x18033918
.long 0xD3B2401A, 0x18033D1A
.long 0xD3B2401C, 0x1803411C
.long 0xD3B2401E, 0x1803451E
.long 0x81858105
.long 0xBF008105
.long 0xBF850543
.long 0xBF8C0F75
.long 0xD3B24018, 0x18034918
.long 0xD3B2401A, 0x18034D1A
.long 0xD3B2401C, 0x1803511C
.long 0xD3B2401E, 0x1803551E
.long 0x81858105
.long 0xBF008105
.long 0xBF850537
.long 0xBF8C0F74
.long 0xD3B24018, 0x18035918
.long 0xD3B2401A, 0x18035D1A
.long 0xD3B2401C, 0x1803611C
.long 0xD3B2401E, 0x1803651E
.long 0x81858105
.long 0xBF008105
.long 0xBF85052B
.long 0xBF8C0F73
.long 0xD3B24018, 0x18036918
.long 0xD3B2401A, 0x18036D1A
.long 0xD3B2401C, 0x1803711C
.long 0xD3B2401E, 0x1803751E
.long 0x81858105
.long 0xBF008105
.long 0xBF85051F
.long 0xBF8C0F72
.long 0xD3B24018, 0x18037918
.long 0xD3B2401A, 0x18037D1A
.long 0xD3B2401C, 0x1803811C
.long 0xD3B2401E, 0x1803851E
.long 0x81858105
.long 0xBF008105
.long 0xBF850513
.long 0xBF8C0F71
.long 0xD3B24018, 0x18038918
.long 0xD3B2401A, 0x18038D1A
.long 0xD3B2401C, 0x1803911C
.long 0xD3B2401E, 0x1803951E
.long 0x81858105
.long 0xBF008105
.long 0xBF850507
.long 0xBF8C0F70
.long 0xD3B24018, 0x18039918
.long 0xD3B2401A, 0x18039D1A
.long 0xD3B2401C, 0x1803A11C
.long 0xD3B2401E, 0x1803A51E
.long 0x81858105
.long 0xBF008105
.long 0xBF8504FB
.long 0xBE850032
.long 0xBF8C0F7D
.long 0xD3B24018, 0x1802B918
.long 0xD3B2401A, 0x1802BD1A
.long 0xD3B2401C, 0x1802C11C
.long 0xD3B2401E, 0x1802C51E
.long 0x81858105
.long 0xBF008105
.long 0xBF8504EE
.long 0xBF8C0F7C
.long 0xD3B24018, 0x1802C918
.long 0xD3B2401A, 0x1802CD1A
.long 0xD3B2401C, 0x1802D11C
.long 0xD3B2401E, 0x1802D51E
.long 0x81858105
.long 0xBF008105
.long 0xBF8504E2
	;; [unrolled: 8-line block ×14, first 2 shown]
.long 0xBE850032
.long 0xBF8C0F7C
.long 0xD3B24018, 0x1802B918
.long 0xD3B2401A, 0x1802BD1A
.long 0xD3B2401C, 0x1802C11C
.long 0xD3B2401E, 0x1802C51E
.long 0x81858105
.long 0xBF008105
.long 0xBF850445
.long 0xBF8C0F7B
.long 0xD3B24018, 0x1802C918
.long 0xD3B2401A, 0x1802CD1A
.long 0xD3B2401C, 0x1802D11C
.long 0xD3B2401E, 0x1802D51E
.long 0x81858105
.long 0xBF008105
	;; [unrolled: 8-line block ×13, first 2 shown]
.long 0xBF8503B5
.long 0xBE850032
.long 0xBF8C0F7B
.long 0xD3B24018, 0x1802B918
.long 0xD3B2401A, 0x1802BD1A
.long 0xD3B2401C, 0x1802C11C
.long 0xD3B2401E, 0x1802C51E
.long 0x81858105
.long 0xBF008105
.long 0xBF8503A8
.long 0xBF8C0F7A
.long 0xD3B24018, 0x1802C918
.long 0xD3B2401A, 0x1802CD1A
.long 0xD3B2401C, 0x1802D11C
.long 0xD3B2401E, 0x1802D51E
.long 0x81858105
	;; [unrolled: 8-line block ×12, first 2 shown]
.long 0xBF008105
.long 0xBF850324
.long 0xBE850032
.long 0xBF8C0F7A
.long 0xD3B24018, 0x1802B918
.long 0xD3B2401A, 0x1802BD1A
.long 0xD3B2401C, 0x1802C11C
.long 0xD3B2401E, 0x1802C51E
.long 0x81858105
.long 0xBF008105
.long 0xBF850317
.long 0xBF8C0F79
.long 0xD3B24018, 0x1802C918
.long 0xD3B2401A, 0x1802CD1A
.long 0xD3B2401C, 0x1802D11C
.long 0xD3B2401E, 0x1802D51E
	;; [unrolled: 8-line block ×11, first 2 shown]
.long 0x81858105
.long 0xBF008105
	;; [unrolled: 1-line block ×5, first 2 shown]
.long 0xD3B24018, 0x1802B918
.long 0xD3B2401A, 0x1802BD1A
.long 0xD3B2401C, 0x1802C11C
.long 0xD3B2401E, 0x1802C51E
.long 0x81858105
.long 0xBF008105
.long 0xBF850292
.long 0xBF8C0F78
.long 0xD3B24018, 0x1802C918
.long 0xD3B2401A, 0x1802CD1A
.long 0xD3B2401C, 0x1802D11C
.long 0xD3B2401E, 0x1802D51E
.long 0x81858105
.long 0xBF008105
.long 0xBF850286
.long 0xBF8C0F77
	;; [unrolled: 8-line block ×10, first 2 shown]
.long 0xBF8C0F78
.long 0xD3B24018, 0x1802B918
.long 0xD3B2401A, 0x1802BD1A
.long 0xD3B2401C, 0x1802C11C
.long 0xD3B2401E, 0x1802C51E
.long 0x81858105
.long 0xBF008105
.long 0xBF850219
.long 0xBF8C0F77
.long 0xD3B24018, 0x1802C918
.long 0xD3B2401A, 0x1802CD1A
.long 0xD3B2401C, 0x1802D11C
.long 0xD3B2401E, 0x1802D51E
.long 0x81858105
.long 0xBF008105
.long 0xBF85020D
	;; [unrolled: 8-line block ×9, first 2 shown]
.long 0xBE850032
.long 0xBF8C0F77
.long 0xD3B24018, 0x1802B918
.long 0xD3B2401A, 0x1802BD1A
.long 0xD3B2401C, 0x1802C11C
.long 0xD3B2401E, 0x1802C51E
.long 0x81858105
.long 0xBF008105
.long 0xBF8501AC
.long 0xBF8C0F76
.long 0xD3B24018, 0x1802C918
.long 0xD3B2401A, 0x1802CD1A
.long 0xD3B2401C, 0x1802D11C
.long 0xD3B2401E, 0x1802D51E
.long 0x81858105
.long 0xBF008105
.long 0xBF8501A0
.long 0xBF8C0F75
.long 0xD3B24018, 0x1802D918
.long 0xD3B2401A, 0x1802DD1A
.long 0xD3B2401C, 0x1802E11C
.long 0xD3B2401E, 0x1802E51E
.long 0x81858105
.long 0xBF008105
.long 0xBF850194
.long 0xBF8C0F74
.long 0xD3B24018, 0x1802E918
.long 0xD3B2401A, 0x1802ED1A
.long 0xD3B2401C, 0x1802F11C
.long 0xD3B2401E, 0x1802F51E
.long 0x81858105
.long 0xBF008105
.long 0xBF850188
.long 0xBF8C0F73
.long 0xD3B24018, 0x1802F918
.long 0xD3B2401A, 0x1802FD1A
.long 0xD3B2401C, 0x1803011C
.long 0xD3B2401E, 0x1803051E
.long 0x81858105
.long 0xBF008105
.long 0xBF85017C
.long 0xBF8C0F72
.long 0xD3B24018, 0x18030918
.long 0xD3B2401A, 0x18030D1A
.long 0xD3B2401C, 0x1803111C
.long 0xD3B2401E, 0x1803151E
.long 0x81858105
.long 0xBF008105
.long 0xBF850170
.long 0xBF8C0F71
.long 0xD3B24018, 0x18031918
.long 0xD3B2401A, 0x18031D1A
.long 0xD3B2401C, 0x1803211C
.long 0xD3B2401E, 0x1803251E
.long 0x81858105
.long 0xBF008105
.long 0xBF850164
.long 0xBF8C0F70
.long 0xD3B24018, 0x18032918
.long 0xD3B2401A, 0x18032D1A
.long 0xD3B2401C, 0x1803311C
.long 0xD3B2401E, 0x1803351E
.long 0x81858105
.long 0xBF008105
.long 0xBF850158
.long 0xBE850032
.long 0xBF8C0F76
.long 0xD3B24018, 0x1802B918
.long 0xD3B2401A, 0x1802BD1A
.long 0xD3B2401C, 0x1802C11C
.long 0xD3B2401E, 0x1802C51E
.long 0x81858105
.long 0xBF008105
.long 0xBF85014B
.long 0xBF8C0F75
.long 0xD3B24018, 0x1802C918
.long 0xD3B2401A, 0x1802CD1A
.long 0xD3B2401C, 0x1802D11C
.long 0xD3B2401E, 0x1802D51E
.long 0x81858105
	;; [unrolled: 8-line block ×7, first 2 shown]
.long 0xBF008105
.long 0xBF850103
.long 0xBE850032
.long 0xBF8C0F75
.long 0xD3B24018, 0x1802B918
.long 0xD3B2401A, 0x1802BD1A
.long 0xD3B2401C, 0x1802C11C
.long 0xD3B2401E, 0x1802C51E
.long 0x81858105
.long 0xBF008105
.long 0xBF8500F6
.long 0xBF8C0F74
.long 0xD3B24018, 0x1802C918
.long 0xD3B2401A, 0x1802CD1A
.long 0xD3B2401C, 0x1802D11C
.long 0xD3B2401E, 0x1802D51E
	;; [unrolled: 8-line block ×6, first 2 shown]
.long 0x81858105
.long 0xBF008105
	;; [unrolled: 1-line block ×5, first 2 shown]
.long 0xD3B24018, 0x1802B918
.long 0xD3B2401A, 0x1802BD1A
.long 0xD3B2401C, 0x1802C11C
.long 0xD3B2401E, 0x1802C51E
.long 0x81858105
.long 0xBF008105
.long 0xBF8500AD
.long 0xBF8C0F73
.long 0xD3B24018, 0x1802C918
.long 0xD3B2401A, 0x1802CD1A
.long 0xD3B2401C, 0x1802D11C
.long 0xD3B2401E, 0x1802D51E
.long 0x81858105
.long 0xBF008105
.long 0xBF8500A1
.long 0xBF8C0F72
	;; [unrolled: 8-line block ×5, first 2 shown]
.long 0xBF8C0F73
.long 0xD3B24018, 0x1802B918
.long 0xD3B2401A, 0x1802BD1A
.long 0xD3B2401C, 0x1802C11C
.long 0xD3B2401E, 0x1802C51E
.long 0x81858105
.long 0xBF008105
.long 0xBF850070
.long 0xBF8C0F72
.long 0xD3B24018, 0x1802C918
.long 0xD3B2401A, 0x1802CD1A
.long 0xD3B2401C, 0x1802D11C
.long 0xD3B2401E, 0x1802D51E
.long 0x81858105
.long 0xBF008105
.long 0xBF850064
	;; [unrolled: 8-line block ×4, first 2 shown]
.long 0xBE850032
.long 0xBF8C0F72
.long 0xD3B24018, 0x1802B918
.long 0xD3B2401A, 0x1802BD1A
.long 0xD3B2401C, 0x1802C11C
.long 0xD3B2401E, 0x1802C51E
.long 0x81858105
.long 0xBF008105
.long 0xBF85003F
.long 0xBF8C0F71
.long 0xD3B24018, 0x1802C918
.long 0xD3B2401A, 0x1802CD1A
.long 0xD3B2401C, 0x1802D11C
.long 0xD3B2401E, 0x1802D51E
.long 0x81858105
.long 0xBF008105
	;; [unrolled: 8-line block ×3, first 2 shown]
.long 0xBF850027
.long 0xBE850032
	;; [unrolled: 1-line block ×3, first 2 shown]
.long 0xD3B24018, 0x1802B918
.long 0xD3B2401A, 0x1802BD1A
	;; [unrolled: 1-line block ×4, first 2 shown]
.long 0x81858105
.long 0xBF008105
	;; [unrolled: 1-line block ×4, first 2 shown]
.long 0xD3B24018, 0x1802C918
.long 0xD3B2401A, 0x1802CD1A
	;; [unrolled: 1-line block ×4, first 2 shown]
.long 0x81858105
.long 0xBF008105
	;; [unrolled: 1-line block ×5, first 2 shown]
.long 0xD3B24018, 0x1802B918
.long 0xD3B2401A, 0x1802BD1A
	;; [unrolled: 1-line block ×4, first 2 shown]
.long 0x81858105
.long 0xBF008105
	;; [unrolled: 1-line block ×12, first 2 shown]
.long 0x7E0E02FF, 0xFFFF0000
.long 0x7E1002FF, 0x7FFF0000
	;; [unrolled: 1-line block ×3, first 2 shown]
.long 0x24082090
.long 0xD13B0018, 0x00006304
.long 0x26080F10
.long 0xD13B0019, 0x00006304
	;; [unrolled: 2-line block ×8, first 2 shown]
.long 0xD048003C, 0x00023118
.long 0xD1C80006, 0x02052118
.long 0xD1FF0006, 0x04260D18
.long 0xD1000018, 0x00F21106
.long 0x20303090
.long 0xD048003C, 0x00023319
.long 0xD1C80006, 0x02052119
.long 0xD1FF0006, 0x04260D19
.long 0xD1000019, 0x00F21106
.long 0xD2010018, 0x04620F19
.long 0xD048003C, 0x0002351A
.long 0xD1C80006, 0x0205211A
.long 0xD1FF0006, 0x04260D1A
.long 0xD100001A, 0x00F21106
.long 0x20343490
.long 0xD048003C, 0x0002371B
.long 0xD1C80006, 0x0205211B
.long 0xD1FF0006, 0x04260D1B
.long 0xD100001B, 0x00F21106
.long 0xD2010019, 0x046A0F1B
	;; [unrolled: 10-line block ×4, first 2 shown]
.long 0xE07CD000, 0x800E180B
.long 0xBF800000
.long 0xBF82089C
.long 0x7E1802FF, 0x80000000
.long 0xD0C9003C, 0x00003900
.long 0xD0C90040, 0x00003B01
.long 0x86C0403C
.long 0xD1FE000A, 0x02060102
.long 0xD100000A, 0x0102150C
	;; [unrolled: 1-line block ×15, first 2 shown]
.long 0xBF800001
.long 0xE07CD000, 0x8003180A
.long 0xE07CD010, 0x80031C0A
.long 0xBF800000
.long 0x7E66055A
	;; [unrolled: 1-line block ×21, first 2 shown]
.long 0xC2330CCC, 0x00000000
.long 0x9649811C
.long 0x9248811C
	;; [unrolled: 1-line block ×26, first 2 shown]
.long 0x7E1A02FF, 0x80000000
.long 0xBEC80016
.long 0xBEC90017
	;; [unrolled: 1-line block ×4, first 2 shown]
.long 0xE05CD000, 0x8012180A
.long 0xE05CD010, 0x80121C0A
.long 0xBE850032
.long 0x81858105
	;; [unrolled: 1-line block ×6, first 2 shown]
.long 0xD0C60046, 0x00000A80
.long 0xD100000E, 0x011A1B0A
.long 0xE05CD000, 0x80125C0E
.long 0xE05CD010, 0x8012600E
.long 0x81858105
.long 0x80484448
.long 0x82494549
.long 0xBF008005
.long 0xBF85079F
.long 0xD0C60046, 0x00000A80
.long 0xD100000E, 0x011A1B0A
.long 0xE05CD000, 0x8012640E
.long 0xE05CD010, 0x8012680E
.long 0x81858105
.long 0x80484448
.long 0x82494549
.long 0xBF008005
.long 0xBF850779
	;; [unrolled: 9-line block ×14, first 2 shown]
.long 0xD0C60046, 0x00000A80
.long 0xD100000E, 0x011A1B0A
.long 0xE05CD000, 0x8012CC0E
.long 0xE05CD010, 0x8012D00E
.long 0xBF8C0F7E
.long 0xD3B24018, 0x1802B918
.long 0xD3B2401A, 0x1802BD1A
.long 0xD3B2401C, 0x1802C11C
.long 0xD3B2401E, 0x1802C51E
.long 0x81858105
.long 0xBF05CE05
.long 0xBF8506F0
.long 0x80484448
.long 0x82494549
.long 0xD0C60046, 0x00000A80
.long 0xD100000E, 0x011A1B0A
.long 0xE05CD000, 0x80125C0E
.long 0xE05CD010, 0x8012600E
.long 0xBF8C0F7E
.long 0xD3B24018, 0x1802C918
.long 0xD3B2401A, 0x1802CD1A
.long 0xD3B2401C, 0x1802D11C
.long 0xD3B2401E, 0x1802D51E
.long 0x81858105
.long 0xBF05CE05
.long 0xBF8506DA
.long 0x80484448
.long 0x82494549
	;; [unrolled: 14-line block ×15, first 2 shown]
.long 0xD0C60046, 0x00000A80
.long 0xD100000E, 0x011A1B0A
.long 0xE05CD000, 0x8012CC0E
.long 0xE05CD010, 0x8012D00E
.long 0xBF02CE05
.long 0xBF85FEB4
.long 0xBE850032
.long 0xBF8C0F7E
.long 0xD3B24018, 0x1802B918
.long 0xD3B2401A, 0x1802BD1A
.long 0xD3B2401C, 0x1802C11C
.long 0xD3B2401E, 0x1802C51E
.long 0x81858105
.long 0xBF008105
.long 0xBF8505A3
.long 0xBF8C0F7D
	;; [unrolled: 8-line block ×16, first 2 shown]
.long 0xBF8C0F7D
.long 0xD3B24018, 0x1802B918
.long 0xD3B2401A, 0x1802BD1A
.long 0xD3B2401C, 0x1802C11C
.long 0xD3B2401E, 0x1802C51E
.long 0x81858105
.long 0xBF008105
.long 0xBF8504EE
.long 0xBF8C0F7C
.long 0xD3B24018, 0x1802C918
.long 0xD3B2401A, 0x1802CD1A
.long 0xD3B2401C, 0x1802D11C
.long 0xD3B2401E, 0x1802D51E
.long 0x81858105
.long 0xBF008105
.long 0xBF8504E2
	;; [unrolled: 8-line block ×14, first 2 shown]
.long 0xBE850032
.long 0xBF8C0F7C
.long 0xD3B24018, 0x1802B918
.long 0xD3B2401A, 0x1802BD1A
.long 0xD3B2401C, 0x1802C11C
.long 0xD3B2401E, 0x1802C51E
.long 0x81858105
.long 0xBF008105
.long 0xBF850445
.long 0xBF8C0F7B
.long 0xD3B24018, 0x1802C918
.long 0xD3B2401A, 0x1802CD1A
.long 0xD3B2401C, 0x1802D11C
.long 0xD3B2401E, 0x1802D51E
.long 0x81858105
.long 0xBF008105
	;; [unrolled: 8-line block ×13, first 2 shown]
.long 0xBF8503B5
.long 0xBE850032
.long 0xBF8C0F7B
.long 0xD3B24018, 0x1802B918
.long 0xD3B2401A, 0x1802BD1A
.long 0xD3B2401C, 0x1802C11C
.long 0xD3B2401E, 0x1802C51E
.long 0x81858105
.long 0xBF008105
.long 0xBF8503A8
.long 0xBF8C0F7A
.long 0xD3B24018, 0x1802C918
.long 0xD3B2401A, 0x1802CD1A
.long 0xD3B2401C, 0x1802D11C
.long 0xD3B2401E, 0x1802D51E
.long 0x81858105
	;; [unrolled: 8-line block ×12, first 2 shown]
.long 0xBF008105
.long 0xBF850324
.long 0xBE850032
.long 0xBF8C0F7A
.long 0xD3B24018, 0x1802B918
.long 0xD3B2401A, 0x1802BD1A
.long 0xD3B2401C, 0x1802C11C
.long 0xD3B2401E, 0x1802C51E
.long 0x81858105
.long 0xBF008105
.long 0xBF850317
.long 0xBF8C0F79
.long 0xD3B24018, 0x1802C918
.long 0xD3B2401A, 0x1802CD1A
.long 0xD3B2401C, 0x1802D11C
.long 0xD3B2401E, 0x1802D51E
	;; [unrolled: 8-line block ×11, first 2 shown]
.long 0x81858105
.long 0xBF008105
	;; [unrolled: 1-line block ×5, first 2 shown]
.long 0xD3B24018, 0x1802B918
.long 0xD3B2401A, 0x1802BD1A
.long 0xD3B2401C, 0x1802C11C
.long 0xD3B2401E, 0x1802C51E
.long 0x81858105
.long 0xBF008105
.long 0xBF850292
.long 0xBF8C0F78
.long 0xD3B24018, 0x1802C918
.long 0xD3B2401A, 0x1802CD1A
.long 0xD3B2401C, 0x1802D11C
.long 0xD3B2401E, 0x1802D51E
.long 0x81858105
.long 0xBF008105
.long 0xBF850286
.long 0xBF8C0F77
	;; [unrolled: 8-line block ×10, first 2 shown]
.long 0xBF8C0F78
.long 0xD3B24018, 0x1802B918
.long 0xD3B2401A, 0x1802BD1A
.long 0xD3B2401C, 0x1802C11C
.long 0xD3B2401E, 0x1802C51E
.long 0x81858105
.long 0xBF008105
.long 0xBF850219
.long 0xBF8C0F77
.long 0xD3B24018, 0x1802C918
.long 0xD3B2401A, 0x1802CD1A
.long 0xD3B2401C, 0x1802D11C
.long 0xD3B2401E, 0x1802D51E
.long 0x81858105
.long 0xBF008105
.long 0xBF85020D
	;; [unrolled: 8-line block ×9, first 2 shown]
.long 0xBE850032
.long 0xBF8C0F77
.long 0xD3B24018, 0x1802B918
.long 0xD3B2401A, 0x1802BD1A
.long 0xD3B2401C, 0x1802C11C
.long 0xD3B2401E, 0x1802C51E
.long 0x81858105
.long 0xBF008105
.long 0xBF8501AC
.long 0xBF8C0F76
.long 0xD3B24018, 0x1802C918
.long 0xD3B2401A, 0x1802CD1A
.long 0xD3B2401C, 0x1802D11C
.long 0xD3B2401E, 0x1802D51E
.long 0x81858105
.long 0xBF008105
.long 0xBF8501A0
.long 0xBF8C0F75
.long 0xD3B24018, 0x1802D918
.long 0xD3B2401A, 0x1802DD1A
.long 0xD3B2401C, 0x1802E11C
.long 0xD3B2401E, 0x1802E51E
.long 0x81858105
.long 0xBF008105
.long 0xBF850194
.long 0xBF8C0F74
.long 0xD3B24018, 0x1802E918
.long 0xD3B2401A, 0x1802ED1A
.long 0xD3B2401C, 0x1802F11C
.long 0xD3B2401E, 0x1802F51E
.long 0x81858105
.long 0xBF008105
.long 0xBF850188
.long 0xBF8C0F73
.long 0xD3B24018, 0x1802F918
.long 0xD3B2401A, 0x1802FD1A
.long 0xD3B2401C, 0x1803011C
.long 0xD3B2401E, 0x1803051E
.long 0x81858105
.long 0xBF008105
.long 0xBF85017C
.long 0xBF8C0F72
.long 0xD3B24018, 0x18030918
.long 0xD3B2401A, 0x18030D1A
.long 0xD3B2401C, 0x1803111C
.long 0xD3B2401E, 0x1803151E
.long 0x81858105
.long 0xBF008105
.long 0xBF850170
.long 0xBF8C0F71
.long 0xD3B24018, 0x18031918
.long 0xD3B2401A, 0x18031D1A
.long 0xD3B2401C, 0x1803211C
.long 0xD3B2401E, 0x1803251E
.long 0x81858105
.long 0xBF008105
.long 0xBF850164
.long 0xBF8C0F70
.long 0xD3B24018, 0x18032918
.long 0xD3B2401A, 0x18032D1A
.long 0xD3B2401C, 0x1803311C
.long 0xD3B2401E, 0x1803351E
.long 0x81858105
.long 0xBF008105
.long 0xBF850158
.long 0xBE850032
.long 0xBF8C0F76
.long 0xD3B24018, 0x1802B918
.long 0xD3B2401A, 0x1802BD1A
.long 0xD3B2401C, 0x1802C11C
.long 0xD3B2401E, 0x1802C51E
.long 0x81858105
.long 0xBF008105
.long 0xBF85014B
.long 0xBF8C0F75
.long 0xD3B24018, 0x1802C918
.long 0xD3B2401A, 0x1802CD1A
.long 0xD3B2401C, 0x1802D11C
.long 0xD3B2401E, 0x1802D51E
.long 0x81858105
	;; [unrolled: 8-line block ×7, first 2 shown]
.long 0xBF008105
.long 0xBF850103
.long 0xBE850032
.long 0xBF8C0F75
.long 0xD3B24018, 0x1802B918
.long 0xD3B2401A, 0x1802BD1A
.long 0xD3B2401C, 0x1802C11C
.long 0xD3B2401E, 0x1802C51E
.long 0x81858105
.long 0xBF008105
.long 0xBF8500F6
.long 0xBF8C0F74
.long 0xD3B24018, 0x1802C918
.long 0xD3B2401A, 0x1802CD1A
.long 0xD3B2401C, 0x1802D11C
.long 0xD3B2401E, 0x1802D51E
	;; [unrolled: 8-line block ×6, first 2 shown]
.long 0x81858105
.long 0xBF008105
	;; [unrolled: 1-line block ×5, first 2 shown]
.long 0xD3B24018, 0x1802B918
.long 0xD3B2401A, 0x1802BD1A
.long 0xD3B2401C, 0x1802C11C
.long 0xD3B2401E, 0x1802C51E
.long 0x81858105
.long 0xBF008105
.long 0xBF8500AD
.long 0xBF8C0F73
.long 0xD3B24018, 0x1802C918
.long 0xD3B2401A, 0x1802CD1A
.long 0xD3B2401C, 0x1802D11C
.long 0xD3B2401E, 0x1802D51E
.long 0x81858105
.long 0xBF008105
.long 0xBF8500A1
.long 0xBF8C0F72
	;; [unrolled: 8-line block ×5, first 2 shown]
.long 0xBF8C0F73
.long 0xD3B24018, 0x1802B918
.long 0xD3B2401A, 0x1802BD1A
.long 0xD3B2401C, 0x1802C11C
.long 0xD3B2401E, 0x1802C51E
.long 0x81858105
.long 0xBF008105
.long 0xBF850070
.long 0xBF8C0F72
.long 0xD3B24018, 0x1802C918
.long 0xD3B2401A, 0x1802CD1A
.long 0xD3B2401C, 0x1802D11C
.long 0xD3B2401E, 0x1802D51E
.long 0x81858105
.long 0xBF008105
.long 0xBF850064
	;; [unrolled: 8-line block ×4, first 2 shown]
.long 0xBE850032
.long 0xBF8C0F72
.long 0xD3B24018, 0x1802B918
.long 0xD3B2401A, 0x1802BD1A
.long 0xD3B2401C, 0x1802C11C
.long 0xD3B2401E, 0x1802C51E
.long 0x81858105
.long 0xBF008105
.long 0xBF85003F
.long 0xBF8C0F71
.long 0xD3B24018, 0x1802C918
.long 0xD3B2401A, 0x1802CD1A
.long 0xD3B2401C, 0x1802D11C
.long 0xD3B2401E, 0x1802D51E
.long 0x81858105
.long 0xBF008105
	;; [unrolled: 8-line block ×3, first 2 shown]
.long 0xBF850027
.long 0xBE850032
	;; [unrolled: 1-line block ×3, first 2 shown]
.long 0xD3B24018, 0x1802B918
.long 0xD3B2401A, 0x1802BD1A
	;; [unrolled: 1-line block ×4, first 2 shown]
.long 0x81858105
.long 0xBF008105
	;; [unrolled: 1-line block ×4, first 2 shown]
.long 0xD3B24018, 0x1802C918
.long 0xD3B2401A, 0x1802CD1A
	;; [unrolled: 1-line block ×4, first 2 shown]
.long 0x81858105
.long 0xBF008105
	;; [unrolled: 1-line block ×5, first 2 shown]
.long 0xD3B24018, 0x1802B918
.long 0xD3B2401A, 0x1802BD1A
	;; [unrolled: 1-line block ×4, first 2 shown]
.long 0x81858105
.long 0xBF008105
	;; [unrolled: 1-line block ×13, first 2 shown]
.long 0x7E0E02FF, 0xFFFF0000
.long 0x7E1002FF, 0x7FFF0000
	;; [unrolled: 1-line block ×3, first 2 shown]
.long 0x24082090
.long 0xD13B0018, 0x00006304
.long 0x26080F10
.long 0xD13B0019, 0x00006304
	;; [unrolled: 2-line block ×8, first 2 shown]
.long 0xD048003C, 0x00023118
.long 0xD1C80006, 0x02052118
.long 0xD1FF0006, 0x04260D18
.long 0xD1000018, 0x00F21106
.long 0x20303090
.long 0xD048003C, 0x00023319
.long 0xD1C80006, 0x02052119
.long 0xD1FF0006, 0x04260D19
.long 0xD1000019, 0x00F21106
.long 0xD2010018, 0x04620F19
.long 0xD048003C, 0x0002351A
.long 0xD1C80006, 0x0205211A
.long 0xD1FF0006, 0x04260D1A
.long 0xD100001A, 0x00F21106
.long 0x20343490
.long 0xD048003C, 0x0002371B
.long 0xD1C80006, 0x0205211B
.long 0xD1FF0006, 0x04260D1B
.long 0xD100001B, 0x00F21106
.long 0xD2010019, 0x046A0F1B
	;; [unrolled: 10-line block ×4, first 2 shown]
.long 0xE07CD000, 0x800E180B
.long 0xBF800000
.long 0xBF820000
	;; [unrolled: 1-line block ×3, first 2 shown]
